;; amdgpu-corpus repo=ROCm/rocFFT kind=compiled arch=gfx906 opt=O3
	.text
	.amdgcn_target "amdgcn-amd-amdhsa--gfx906"
	.amdhsa_code_object_version 6
	.protected	fft_rtc_back_len416_factors_13_2_16_wgs_64_tpt_32_half_ip_CI_unitstride_sbrr_C2R_dirReg ; -- Begin function fft_rtc_back_len416_factors_13_2_16_wgs_64_tpt_32_half_ip_CI_unitstride_sbrr_C2R_dirReg
	.globl	fft_rtc_back_len416_factors_13_2_16_wgs_64_tpt_32_half_ip_CI_unitstride_sbrr_C2R_dirReg
	.p2align	8
	.type	fft_rtc_back_len416_factors_13_2_16_wgs_64_tpt_32_half_ip_CI_unitstride_sbrr_C2R_dirReg,@function
fft_rtc_back_len416_factors_13_2_16_wgs_64_tpt_32_half_ip_CI_unitstride_sbrr_C2R_dirReg: ; @fft_rtc_back_len416_factors_13_2_16_wgs_64_tpt_32_half_ip_CI_unitstride_sbrr_C2R_dirReg
; %bb.0:
	s_load_dwordx2 s[2:3], s[4:5], 0x50
	s_load_dwordx4 s[8:11], s[4:5], 0x0
	s_load_dwordx2 s[12:13], s[4:5], 0x18
	v_lshrrev_b32_e32 v1, 5, v0
	v_lshl_or_b32 v5, s6, 1, v1
	v_mov_b32_e32 v3, 0
	s_waitcnt lgkmcnt(0)
	v_cmp_lt_u64_e64 s[0:1], s[10:11], 2
	v_mov_b32_e32 v1, 0
	v_mov_b32_e32 v6, v3
	s_and_b64 vcc, exec, s[0:1]
	v_mov_b32_e32 v2, 0
	s_cbranch_vccnz .LBB0_8
; %bb.1:
	s_load_dwordx2 s[0:1], s[4:5], 0x10
	s_add_u32 s6, s12, 8
	s_addc_u32 s7, s13, 0
	v_mov_b32_e32 v1, 0
	v_mov_b32_e32 v2, 0
	s_waitcnt lgkmcnt(0)
	s_add_u32 s14, s0, 8
	s_addc_u32 s15, s1, 0
	s_mov_b64 s[16:17], 1
.LBB0_2:                                ; =>This Inner Loop Header: Depth=1
	s_load_dwordx2 s[18:19], s[14:15], 0x0
                                        ; implicit-def: $vgpr7_vgpr8
	s_waitcnt lgkmcnt(0)
	v_or_b32_e32 v4, s19, v6
	v_cmp_ne_u64_e32 vcc, 0, v[3:4]
	s_and_saveexec_b64 s[0:1], vcc
	s_xor_b64 s[20:21], exec, s[0:1]
	s_cbranch_execz .LBB0_4
; %bb.3:                                ;   in Loop: Header=BB0_2 Depth=1
	v_cvt_f32_u32_e32 v4, s18
	v_cvt_f32_u32_e32 v7, s19
	s_sub_u32 s0, 0, s18
	s_subb_u32 s1, 0, s19
	v_mac_f32_e32 v4, 0x4f800000, v7
	v_rcp_f32_e32 v4, v4
	v_mul_f32_e32 v4, 0x5f7ffffc, v4
	v_mul_f32_e32 v7, 0x2f800000, v4
	v_trunc_f32_e32 v7, v7
	v_mac_f32_e32 v4, 0xcf800000, v7
	v_cvt_u32_f32_e32 v7, v7
	v_cvt_u32_f32_e32 v4, v4
	v_mul_lo_u32 v8, s0, v7
	v_mul_hi_u32 v9, s0, v4
	v_mul_lo_u32 v11, s1, v4
	v_mul_lo_u32 v10, s0, v4
	v_add_u32_e32 v8, v9, v8
	v_add_u32_e32 v8, v8, v11
	v_mul_hi_u32 v9, v4, v10
	v_mul_lo_u32 v11, v4, v8
	v_mul_hi_u32 v13, v4, v8
	v_mul_hi_u32 v12, v7, v10
	v_mul_lo_u32 v10, v7, v10
	v_mul_hi_u32 v14, v7, v8
	v_add_co_u32_e32 v9, vcc, v9, v11
	v_addc_co_u32_e32 v11, vcc, 0, v13, vcc
	v_mul_lo_u32 v8, v7, v8
	v_add_co_u32_e32 v9, vcc, v9, v10
	v_addc_co_u32_e32 v9, vcc, v11, v12, vcc
	v_addc_co_u32_e32 v10, vcc, 0, v14, vcc
	v_add_co_u32_e32 v8, vcc, v9, v8
	v_addc_co_u32_e32 v9, vcc, 0, v10, vcc
	v_add_co_u32_e32 v4, vcc, v4, v8
	v_addc_co_u32_e32 v7, vcc, v7, v9, vcc
	v_mul_lo_u32 v8, s0, v7
	v_mul_hi_u32 v9, s0, v4
	v_mul_lo_u32 v10, s1, v4
	v_mul_lo_u32 v11, s0, v4
	v_add_u32_e32 v8, v9, v8
	v_add_u32_e32 v8, v8, v10
	v_mul_lo_u32 v12, v4, v8
	v_mul_hi_u32 v13, v4, v11
	v_mul_hi_u32 v14, v4, v8
	;; [unrolled: 1-line block ×3, first 2 shown]
	v_mul_lo_u32 v11, v7, v11
	v_mul_hi_u32 v9, v7, v8
	v_add_co_u32_e32 v12, vcc, v13, v12
	v_addc_co_u32_e32 v13, vcc, 0, v14, vcc
	v_mul_lo_u32 v8, v7, v8
	v_add_co_u32_e32 v11, vcc, v12, v11
	v_addc_co_u32_e32 v10, vcc, v13, v10, vcc
	v_addc_co_u32_e32 v9, vcc, 0, v9, vcc
	v_add_co_u32_e32 v8, vcc, v10, v8
	v_addc_co_u32_e32 v9, vcc, 0, v9, vcc
	v_add_co_u32_e32 v4, vcc, v4, v8
	v_addc_co_u32_e32 v9, vcc, v7, v9, vcc
	v_mad_u64_u32 v[7:8], s[0:1], v5, v9, 0
	v_mul_hi_u32 v10, v5, v4
	v_add_co_u32_e32 v11, vcc, v10, v7
	v_addc_co_u32_e32 v12, vcc, 0, v8, vcc
	v_mad_u64_u32 v[7:8], s[0:1], v6, v4, 0
	v_mad_u64_u32 v[9:10], s[0:1], v6, v9, 0
	v_add_co_u32_e32 v4, vcc, v11, v7
	v_addc_co_u32_e32 v4, vcc, v12, v8, vcc
	v_addc_co_u32_e32 v7, vcc, 0, v10, vcc
	v_add_co_u32_e32 v4, vcc, v4, v9
	v_addc_co_u32_e32 v9, vcc, 0, v7, vcc
	v_mul_lo_u32 v10, s19, v4
	v_mul_lo_u32 v11, s18, v9
	v_mad_u64_u32 v[7:8], s[0:1], s18, v4, 0
	v_add3_u32 v8, v8, v11, v10
	v_sub_u32_e32 v10, v6, v8
	v_mov_b32_e32 v11, s19
	v_sub_co_u32_e32 v7, vcc, v5, v7
	v_subb_co_u32_e64 v10, s[0:1], v10, v11, vcc
	v_subrev_co_u32_e64 v11, s[0:1], s18, v7
	v_subbrev_co_u32_e64 v10, s[0:1], 0, v10, s[0:1]
	v_cmp_le_u32_e64 s[0:1], s19, v10
	v_cndmask_b32_e64 v12, 0, -1, s[0:1]
	v_cmp_le_u32_e64 s[0:1], s18, v11
	v_cndmask_b32_e64 v11, 0, -1, s[0:1]
	v_cmp_eq_u32_e64 s[0:1], s19, v10
	v_cndmask_b32_e64 v10, v12, v11, s[0:1]
	v_add_co_u32_e64 v11, s[0:1], 2, v4
	v_addc_co_u32_e64 v12, s[0:1], 0, v9, s[0:1]
	v_add_co_u32_e64 v13, s[0:1], 1, v4
	v_addc_co_u32_e64 v14, s[0:1], 0, v9, s[0:1]
	v_subb_co_u32_e32 v8, vcc, v6, v8, vcc
	v_cmp_ne_u32_e64 s[0:1], 0, v10
	v_cmp_le_u32_e32 vcc, s19, v8
	v_cndmask_b32_e64 v10, v14, v12, s[0:1]
	v_cndmask_b32_e64 v12, 0, -1, vcc
	v_cmp_le_u32_e32 vcc, s18, v7
	v_cndmask_b32_e64 v7, 0, -1, vcc
	v_cmp_eq_u32_e32 vcc, s19, v8
	v_cndmask_b32_e32 v7, v12, v7, vcc
	v_cmp_ne_u32_e32 vcc, 0, v7
	v_cndmask_b32_e64 v7, v13, v11, s[0:1]
	v_cndmask_b32_e32 v8, v9, v10, vcc
	v_cndmask_b32_e32 v7, v4, v7, vcc
.LBB0_4:                                ;   in Loop: Header=BB0_2 Depth=1
	s_andn2_saveexec_b64 s[0:1], s[20:21]
	s_cbranch_execz .LBB0_6
; %bb.5:                                ;   in Loop: Header=BB0_2 Depth=1
	v_cvt_f32_u32_e32 v4, s18
	s_sub_i32 s20, 0, s18
	v_rcp_iflag_f32_e32 v4, v4
	v_mul_f32_e32 v4, 0x4f7ffffe, v4
	v_cvt_u32_f32_e32 v4, v4
	v_mul_lo_u32 v7, s20, v4
	v_mul_hi_u32 v7, v4, v7
	v_add_u32_e32 v4, v4, v7
	v_mul_hi_u32 v4, v5, v4
	v_mul_lo_u32 v7, v4, s18
	v_add_u32_e32 v8, 1, v4
	v_sub_u32_e32 v7, v5, v7
	v_subrev_u32_e32 v9, s18, v7
	v_cmp_le_u32_e32 vcc, s18, v7
	v_cndmask_b32_e32 v7, v7, v9, vcc
	v_cndmask_b32_e32 v4, v4, v8, vcc
	v_add_u32_e32 v8, 1, v4
	v_cmp_le_u32_e32 vcc, s18, v7
	v_cndmask_b32_e32 v7, v4, v8, vcc
	v_mov_b32_e32 v8, v3
.LBB0_6:                                ;   in Loop: Header=BB0_2 Depth=1
	s_or_b64 exec, exec, s[0:1]
	v_mul_lo_u32 v4, v8, s18
	v_mul_lo_u32 v11, v7, s19
	v_mad_u64_u32 v[9:10], s[0:1], v7, s18, 0
	s_load_dwordx2 s[0:1], s[6:7], 0x0
	s_add_u32 s16, s16, 1
	v_add3_u32 v4, v10, v11, v4
	v_sub_co_u32_e32 v5, vcc, v5, v9
	v_subb_co_u32_e32 v4, vcc, v6, v4, vcc
	s_waitcnt lgkmcnt(0)
	v_mul_lo_u32 v4, s0, v4
	v_mul_lo_u32 v6, s1, v5
	v_mad_u64_u32 v[1:2], s[0:1], s0, v5, v[1:2]
	s_addc_u32 s17, s17, 0
	s_add_u32 s6, s6, 8
	v_add3_u32 v2, v6, v2, v4
	v_mov_b32_e32 v4, s10
	v_mov_b32_e32 v5, s11
	s_addc_u32 s7, s7, 0
	v_cmp_ge_u64_e32 vcc, s[16:17], v[4:5]
	s_add_u32 s14, s14, 8
	s_addc_u32 s15, s15, 0
	s_cbranch_vccnz .LBB0_9
; %bb.7:                                ;   in Loop: Header=BB0_2 Depth=1
	v_mov_b32_e32 v5, v7
	v_mov_b32_e32 v6, v8
	s_branch .LBB0_2
.LBB0_8:
	v_mov_b32_e32 v8, v6
	v_mov_b32_e32 v7, v5
.LBB0_9:
	s_lshl_b64 s[0:1], s[10:11], 3
	s_add_u32 s0, s12, s0
	s_addc_u32 s1, s13, s1
	s_load_dwordx2 s[0:1], s[0:1], 0x0
	v_mov_b32_e32 v6, 0x1a1
	s_waitcnt lgkmcnt(0)
	v_mul_lo_u32 v4, s0, v8
	v_mul_lo_u32 v5, s1, v7
	v_mad_u64_u32 v[2:3], s[0:1], s0, v7, v[1:2]
	s_load_dwordx2 s[0:1], s[4:5], 0x20
	v_and_b32_e32 v1, 32, v0
	v_add3_u32 v3, v5, v3, v4
	v_cmp_ne_u32_e32 vcc, 0, v1
	v_cndmask_b32_e32 v1, 0, v6, vcc
	s_waitcnt lgkmcnt(0)
	v_cmp_gt_u64_e32 vcc, s[0:1], v[7:8]
	v_lshlrev_b64 v[2:3], 2, v[2:3]
	v_and_b32_e32 v0, 31, v0
	v_lshlrev_b32_e32 v23, 2, v1
	s_and_saveexec_b64 s[4:5], vcc
	s_cbranch_execz .LBB0_13
; %bb.10:
	v_mov_b32_e32 v5, s3
	v_add_co_u32_e64 v4, s[0:1], s2, v2
	v_addc_co_u32_e64 v5, s[0:1], v5, v3, s[0:1]
	v_lshlrev_b32_e32 v8, 2, v0
	v_add_co_u32_e64 v6, s[0:1], v4, v8
	v_addc_co_u32_e64 v7, s[0:1], 0, v5, s[0:1]
	global_load_dword v9, v[6:7], off
	global_load_dword v10, v[6:7], off offset:128
	global_load_dword v11, v[6:7], off offset:256
	;; [unrolled: 1-line block ×12, first 2 shown]
	v_add3_u32 v6, 0, v23, v8
	v_cmp_eq_u32_e64 s[0:1], 31, v0
	v_add_u32_e32 v7, 0x400, v6
	s_waitcnt vmcnt(11)
	ds_write2_b32 v6, v9, v10 offset1:32
	s_waitcnt vmcnt(9)
	ds_write2_b32 v6, v11, v12 offset0:64 offset1:96
	s_waitcnt vmcnt(7)
	ds_write2_b32 v6, v13, v14 offset0:128 offset1:160
	;; [unrolled: 2-line block ×3, first 2 shown]
	s_waitcnt vmcnt(3)
	ds_write2_b32 v7, v17, v18 offset1:32
	s_waitcnt vmcnt(1)
	ds_write2_b32 v7, v19, v20 offset0:64 offset1:96
	s_waitcnt vmcnt(0)
	ds_write_b32 v6, v21 offset:1536
	s_and_saveexec_b64 s[6:7], s[0:1]
	s_cbranch_execz .LBB0_12
; %bb.11:
	global_load_dword v0, v[4:5], off offset:1664
	s_waitcnt vmcnt(0)
	ds_write_b32 v6, v0 offset:1540
	v_mov_b32_e32 v0, 31
.LBB0_12:
	s_or_b64 exec, exec, s[6:7]
.LBB0_13:
	s_or_b64 exec, exec, s[4:5]
	v_lshl_add_u32 v21, v1, 2, 0
	v_lshlrev_b32_e32 v6, 2, v0
	v_add_u32_e32 v22, v21, v6
	s_waitcnt lgkmcnt(0)
	; wave barrier
	s_waitcnt lgkmcnt(0)
	v_sub_u32_e32 v7, v21, v6
	ds_read_u16 v10, v22
	ds_read_u16 v11, v7 offset:1664
	v_cmp_ne_u32_e64 s[0:1], 0, v0
                                        ; implicit-def: $vgpr4_vgpr5
	s_waitcnt lgkmcnt(0)
	v_add_f16_e32 v8, v11, v10
	v_sub_f16_e32 v9, v10, v11
	s_and_saveexec_b64 s[4:5], s[0:1]
	s_xor_b64 s[0:1], exec, s[4:5]
	s_cbranch_execz .LBB0_15
; %bb.14:
	global_load_dword v4, v6, s[8:9] offset:1612
	ds_read_u16 v5, v7 offset:1666
	ds_read_u16 v8, v22 offset:2
	v_add_f16_e32 v9, v11, v10
	v_sub_f16_e32 v10, v10, v11
	v_mov_b32_e32 v1, 0
	s_waitcnt lgkmcnt(0)
	v_add_f16_e32 v11, v5, v8
	v_sub_f16_e32 v5, v8, v5
	s_waitcnt vmcnt(0)
	v_lshrrev_b32_e32 v8, 16, v4
	v_fma_f16 v12, v10, v8, v9
	v_fma_f16 v13, v11, v8, v5
	v_fma_f16 v14, -v10, v8, v9
	v_fma_f16 v5, v11, v8, -v5
	v_fma_f16 v8, -v4, v11, v12
	v_fma_f16 v9, v10, v4, v13
	v_fma_f16 v11, v4, v11, v14
	;; [unrolled: 1-line block ×3, first 2 shown]
	v_pack_b32_f16 v4, v11, v4
	ds_write_b32 v7, v4 offset:1664
	v_mov_b32_e32 v5, v1
	v_mov_b32_e32 v4, v0
.LBB0_15:
	s_andn2_saveexec_b64 s[0:1], s[0:1]
	s_cbranch_execz .LBB0_17
; %bb.16:
	ds_read_b32 v1, v21 offset:832
	s_mov_b32 s4, 0xc0004000
	v_mov_b32_e32 v4, 0
	v_mov_b32_e32 v5, 0
	s_waitcnt lgkmcnt(0)
	v_pk_mul_f16 v1, v1, s4
	ds_write_b32 v21, v1 offset:832
.LBB0_17:
	s_or_b64 exec, exec, s[0:1]
	s_add_u32 s0, s8, 0x64c
	v_lshlrev_b64 v[4:5], 2, v[4:5]
	s_addc_u32 s1, s9, 0
	v_mov_b32_e32 v1, s1
	v_add_co_u32_e64 v4, s[0:1], s0, v4
	v_addc_co_u32_e64 v5, s[0:1], v1, v5, s[0:1]
	global_load_dword v1, v[4:5], off offset:128
	global_load_dword v10, v[4:5], off offset:256
	;; [unrolled: 1-line block ×4, first 2 shown]
	s_mov_b32 s0, 0x5040100
	v_perm_b32 v8, v9, v8, s0
	ds_write_b32 v22, v8
	ds_read_b32 v8, v22 offset:128
	ds_read_b32 v9, v7 offset:1536
	global_load_dword v13, v[4:5], off offset:640
	s_movk_i32 s0, 0xd0
	s_waitcnt lgkmcnt(0)
	v_add_f16_e32 v14, v8, v9
	v_add_f16_sdwa v15, v9, v8 dst_sel:DWORD dst_unused:UNUSED_PAD src0_sel:WORD_1 src1_sel:WORD_1
	v_sub_f16_e32 v16, v8, v9
	v_sub_f16_sdwa v8, v8, v9 dst_sel:DWORD dst_unused:UNUSED_PAD src0_sel:WORD_1 src1_sel:WORD_1
	s_waitcnt vmcnt(4)
	v_lshrrev_b32_e32 v9, 16, v1
	v_fma_f16 v17, v16, v9, v14
	v_fma_f16 v18, v15, v9, v8
	v_fma_f16 v14, -v16, v9, v14
	v_fma_f16 v8, v15, v9, -v8
	v_fma_f16 v9, -v1, v15, v17
	v_fma_f16 v17, v16, v1, v18
	v_fma_f16 v14, v1, v15, v14
	v_fma_f16 v1, v16, v1, v8
	v_pack_b32_f16 v8, v9, v17
	v_pack_b32_f16 v1, v14, v1
	ds_write_b32 v22, v8 offset:128
	ds_write_b32 v7, v1 offset:1536
	ds_read_b32 v1, v22 offset:256
	ds_read_b32 v8, v7 offset:1408
	s_waitcnt vmcnt(3)
	v_lshrrev_b32_e32 v9, 16, v10
	s_waitcnt lgkmcnt(0)
	v_add_f16_e32 v14, v1, v8
	v_add_f16_sdwa v15, v8, v1 dst_sel:DWORD dst_unused:UNUSED_PAD src0_sel:WORD_1 src1_sel:WORD_1
	v_sub_f16_e32 v16, v1, v8
	v_sub_f16_sdwa v1, v1, v8 dst_sel:DWORD dst_unused:UNUSED_PAD src0_sel:WORD_1 src1_sel:WORD_1
	v_fma_f16 v8, v16, v9, v14
	v_fma_f16 v17, v15, v9, v1
	v_fma_f16 v14, -v16, v9, v14
	v_fma_f16 v1, v15, v9, -v1
	v_fma_f16 v8, -v10, v15, v8
	v_fma_f16 v9, v16, v10, v17
	v_fma_f16 v14, v10, v15, v14
	v_fma_f16 v1, v16, v10, v1
	v_pack_b32_f16 v8, v8, v9
	v_pack_b32_f16 v1, v14, v1
	ds_write_b32 v22, v8 offset:256
	ds_write_b32 v7, v1 offset:1408
	ds_read_b32 v1, v22 offset:384
	ds_read_b32 v8, v7 offset:1280
	s_waitcnt vmcnt(2)
	v_lshrrev_b32_e32 v9, 16, v11
	s_waitcnt lgkmcnt(0)
	v_add_f16_e32 v10, v1, v8
	v_add_f16_sdwa v14, v8, v1 dst_sel:DWORD dst_unused:UNUSED_PAD src0_sel:WORD_1 src1_sel:WORD_1
	v_sub_f16_e32 v15, v1, v8
	v_sub_f16_sdwa v1, v1, v8 dst_sel:DWORD dst_unused:UNUSED_PAD src0_sel:WORD_1 src1_sel:WORD_1
	;; [unrolled: 21-line block ×3, first 2 shown]
	v_fma_f16 v8, v14, v9, v10
	v_fma_f16 v15, v11, v9, v1
	v_fma_f16 v10, -v14, v9, v10
	v_fma_f16 v1, v11, v9, -v1
	v_fma_f16 v8, -v12, v11, v8
	v_fma_f16 v9, v14, v12, v15
	v_fma_f16 v10, v12, v11, v10
	;; [unrolled: 1-line block ×3, first 2 shown]
	v_pack_b32_f16 v8, v8, v9
	v_pack_b32_f16 v1, v10, v1
	ds_write_b32 v22, v8 offset:512
	ds_write_b32 v7, v1 offset:1152
	ds_read_b32 v1, v22 offset:640
	ds_read_b32 v8, v7 offset:1024
	s_waitcnt vmcnt(0)
	v_lshrrev_b32_e32 v9, 16, v13
	v_or_b32_e32 v10, 0xc0, v0
	v_cmp_gt_u32_e64 s[0:1], s0, v10
	s_waitcnt lgkmcnt(0)
	v_add_f16_e32 v11, v1, v8
	v_add_f16_sdwa v12, v8, v1 dst_sel:DWORD dst_unused:UNUSED_PAD src0_sel:WORD_1 src1_sel:WORD_1
	v_sub_f16_e32 v14, v1, v8
	v_sub_f16_sdwa v1, v1, v8 dst_sel:DWORD dst_unused:UNUSED_PAD src0_sel:WORD_1 src1_sel:WORD_1
	v_fma_f16 v8, v14, v9, v11
	v_fma_f16 v15, v12, v9, v1
	v_fma_f16 v11, -v14, v9, v11
	v_fma_f16 v1, v12, v9, -v1
	v_fma_f16 v8, -v13, v12, v8
	v_fma_f16 v9, v14, v13, v15
	v_fma_f16 v11, v13, v12, v11
	;; [unrolled: 1-line block ×3, first 2 shown]
	v_pack_b32_f16 v8, v8, v9
	v_pack_b32_f16 v1, v11, v1
	ds_write_b32 v22, v8 offset:640
	ds_write_b32 v7, v1 offset:1024
	s_and_saveexec_b64 s[4:5], s[0:1]
	s_cbranch_execz .LBB0_19
; %bb.18:
	global_load_dword v1, v[4:5], off offset:768
	ds_read_b32 v4, v22 offset:768
	ds_read_b32 v5, v7 offset:896
	s_waitcnt lgkmcnt(0)
	v_add_f16_e32 v8, v4, v5
	v_add_f16_sdwa v9, v5, v4 dst_sel:DWORD dst_unused:UNUSED_PAD src0_sel:WORD_1 src1_sel:WORD_1
	v_sub_f16_e32 v11, v4, v5
	v_sub_f16_sdwa v4, v4, v5 dst_sel:DWORD dst_unused:UNUSED_PAD src0_sel:WORD_1 src1_sel:WORD_1
	s_waitcnt vmcnt(0)
	v_lshrrev_b32_e32 v5, 16, v1
	v_fma_f16 v12, v11, v5, v8
	v_fma_f16 v13, v9, v5, v4
	v_fma_f16 v8, -v11, v5, v8
	v_fma_f16 v4, v9, v5, -v4
	v_fma_f16 v5, -v1, v9, v12
	v_fma_f16 v12, v11, v1, v13
	v_fma_f16 v8, v1, v9, v8
	;; [unrolled: 1-line block ×3, first 2 shown]
	v_pack_b32_f16 v4, v5, v12
	v_pack_b32_f16 v1, v8, v1
	ds_write_b32 v22, v4 offset:768
	ds_write_b32 v7, v1 offset:896
.LBB0_19:
	s_or_b64 exec, exec, s[4:5]
	v_add3_u32 v1, 0, v6, v23
	s_waitcnt lgkmcnt(0)
	; wave barrier
	s_waitcnt lgkmcnt(0)
	s_waitcnt lgkmcnt(0)
	; wave barrier
	s_waitcnt lgkmcnt(0)
	ds_read2_b32 v[26:27], v1 offset0:96 offset1:128
	ds_read2_b32 v[4:5], v1 offset0:160 offset1:192
	v_add_u32_e32 v11, 0x200, v1
	ds_read_b32 v9, v22
	ds_read2_b32 v[14:15], v1 offset0:32 offset1:64
	ds_read2_b32 v[6:7], v11 offset0:96 offset1:128
	v_add_u32_e32 v12, 0x400, v1
	ds_read2_b32 v[30:31], v12 offset0:32 offset1:64
	ds_read2_b32 v[16:17], v12 offset0:96 offset1:128
	s_mov_b32 s17, 0xba95
	s_waitcnt lgkmcnt(3)
	v_pk_add_f16 v13, v9, v14
	v_pk_add_f16 v13, v13, v15
	;; [unrolled: 1-line block ×6, first 2 shown]
	s_waitcnt lgkmcnt(2)
	v_pk_add_f16 v13, v13, v6
	v_pk_add_f16 v13, v13, v7
	s_waitcnt lgkmcnt(1)
	v_pk_add_f16 v13, v13, v30
	v_pk_add_f16 v13, v13, v31
	;; [unrolled: 3-line block ×3, first 2 shown]
	v_pk_add_f16 v18, v17, v14
	v_pk_add_f16 v17, v14, v17 neg_lo:[0,1] neg_hi:[0,1]
	v_mul_f16_sdwa v20, v17, s17 dst_sel:DWORD dst_unused:UNUSED_PAD src0_sel:WORD_1 src1_sel:DWORD
	s_movk_i32 s0, 0x388b
	v_fma_f16 v24, v18, s0, v20
	v_add_f16_e32 v28, v9, v24
	v_mul_f16_sdwa v24, v18, s0 dst_sel:DWORD dst_unused:UNUSED_PAD src0_sel:WORD_1 src1_sel:DWORD
	s_movk_i32 s1, 0x3a95
	v_fma_f16 v25, v17, s1, v24
	v_fma_f16 v24, v17, s17, v24
	s_mov_b32 s21, 0xbbf1
	v_add_f16_sdwa v33, v9, v24 dst_sel:DWORD dst_unused:UNUSED_PAD src0_sel:WORD_1 src1_sel:DWORD
	v_mul_f16_sdwa v24, v17, s21 dst_sel:DWORD dst_unused:UNUSED_PAD src0_sel:WORD_1 src1_sel:DWORD
	s_movk_i32 s5, 0x2fb7
	v_add_f16_sdwa v29, v9, v25 dst_sel:DWORD dst_unused:UNUSED_PAD src0_sel:WORD_1 src1_sel:DWORD
	v_fma_f16 v25, v18, s5, v24
	v_add_f16_e32 v34, v9, v25
	v_mul_f16_sdwa v25, v18, s5 dst_sel:DWORD dst_unused:UNUSED_PAD src0_sel:WORD_1 src1_sel:DWORD
	v_fma_f16 v24, v18, s5, -v24
	v_add_f16_e32 v36, v9, v24
	v_fma_f16 v24, v17, s21, v25
	s_mov_b32 s10, 0xbb7b
	s_movk_i32 s7, 0x3bf1
	v_add_f16_sdwa v37, v9, v24 dst_sel:DWORD dst_unused:UNUSED_PAD src0_sel:WORD_1 src1_sel:DWORD
	v_mul_f16_sdwa v24, v17, s10 dst_sel:DWORD dst_unused:UNUSED_PAD src0_sel:WORD_1 src1_sel:DWORD
	s_mov_b32 s11, 0xb5ac
	v_fma_f16 v35, v17, s7, v25
	v_fma_f16 v25, v18, s11, v24
	v_add_f16_e32 v38, v9, v25
	v_mul_f16_sdwa v25, v18, s11 dst_sel:DWORD dst_unused:UNUSED_PAD src0_sel:WORD_1 src1_sel:DWORD
	v_fma_f16 v24, v18, s11, -v24
	v_add_f16_e32 v40, v9, v24
	v_fma_f16 v24, v17, s10, v25
	s_mov_b32 s12, 0xb94e
	s_movk_i32 s19, 0x3b7b
	v_add_f16_sdwa v41, v9, v24 dst_sel:DWORD dst_unused:UNUSED_PAD src0_sel:WORD_1 src1_sel:DWORD
	v_mul_f16_sdwa v24, v17, s12 dst_sel:DWORD dst_unused:UNUSED_PAD src0_sel:WORD_1 src1_sel:DWORD
	s_mov_b32 s13, 0xb9fd
	v_fma_f16 v39, v17, s19, v25
	v_fma_f16 v25, v18, s13, v24
	v_add_f16_e32 v42, v9, v25
	v_mul_f16_sdwa v25, v18, s13 dst_sel:DWORD dst_unused:UNUSED_PAD src0_sel:WORD_1 src1_sel:DWORD
	v_fma_f16 v24, v18, s13, -v24
	s_mov_b32 s18, 0xb770
	v_add_f16_e32 v44, v9, v24
	v_fma_f16 v24, v17, s12, v25
	v_pk_mul_f16 v14, v17, s18 op_sel_hi:[1,0]
	s_movk_i32 s4, 0x3b15
	s_movk_i32 s20, 0x394e
	v_add_f16_sdwa v45, v9, v24 dst_sel:DWORD dst_unused:UNUSED_PAD src0_sel:WORD_1 src1_sel:DWORD
	v_pk_add_f16 v24, v15, v16 neg_lo:[0,1] neg_hi:[0,1]
	v_pk_fma_f16 v13, v18, s4, v14 op_sel:[0,0,1] op_sel_hi:[1,0,0]
	v_pk_fma_f16 v14, v18, s4, v14 op_sel:[0,0,1] op_sel_hi:[1,0,0] neg_lo:[0,0,1] neg_hi:[0,0,1]
	s_mov_b32 s6, 0xffff
	v_fma_f16 v43, v17, s20, v25
	v_pk_add_f16 v25, v16, v15
	v_pk_mul_f16 v16, v24, s17 op_sel_hi:[1,0]
	v_bfi_b32 v19, s6, v13, v14
	v_pk_fma_f16 v15, v25, s0, v16 op_sel:[0,0,1] op_sel_hi:[1,0,0]
	v_pk_fma_f16 v16, v25, s0, v16 op_sel:[0,0,1] op_sel_hi:[1,0,0] neg_lo:[0,0,1] neg_hi:[0,0,1]
	v_pk_add_f16 v19, v9, v19
	v_bfi_b32 v46, s6, v15, v16
	v_pk_add_f16 v46, v46, v19
	v_mul_f16_sdwa v19, v24, s10 dst_sel:DWORD dst_unused:UNUSED_PAD src0_sel:WORD_1 src1_sel:DWORD
	v_fma_f16 v20, v18, s0, -v20
	v_fma_f16 v47, v25, s11, v19
	v_add_f16_e32 v20, v9, v20
	v_add_f16_e32 v47, v47, v28
	v_mul_f16_sdwa v28, v25, s11 dst_sel:DWORD dst_unused:UNUSED_PAD src0_sel:WORD_1 src1_sel:DWORD
	v_fma_f16 v19, v25, s11, -v19
	v_add_f16_e32 v49, v19, v20
	v_fma_f16 v19, v24, s10, v28
	s_mov_b32 s14, 0xb3a8
	v_add_f16_e32 v33, v19, v33
	v_mul_f16_sdwa v19, v24, s14 dst_sel:DWORD dst_unused:UNUSED_PAD src0_sel:WORD_1 src1_sel:DWORD
	s_mov_b32 s15, 0xbbc4
	v_fma_f16 v20, v25, s15, v19
	v_add_f16_e32 v34, v20, v34
	v_mul_f16_sdwa v20, v25, s15 dst_sel:DWORD dst_unused:UNUSED_PAD src0_sel:WORD_1 src1_sel:DWORD
	v_fma_f16 v19, v25, s15, -v19
	v_add_f16_e32 v36, v19, v36
	v_fma_f16 v19, v24, s14, v20
	s_movk_i32 s22, 0x33a8
	v_add_f16_e32 v37, v19, v37
	v_mul_f16_sdwa v19, v24, s20 dst_sel:DWORD dst_unused:UNUSED_PAD src0_sel:WORD_1 src1_sel:DWORD
	v_fma_f16 v48, v24, s19, v28
	v_fma_f16 v28, v24, s22, v20
	v_fma_f16 v20, v25, s13, v19
	v_add_f16_e32 v38, v20, v38
	v_mul_f16_sdwa v20, v25, s13 dst_sel:DWORD dst_unused:UNUSED_PAD src0_sel:WORD_1 src1_sel:DWORD
	v_fma_f16 v19, v25, s13, -v19
	v_add_f16_e32 v40, v19, v40
	v_fma_f16 v19, v24, s20, v20
	v_add_f16_sdwa v35, v9, v35 dst_sel:DWORD dst_unused:UNUSED_PAD src0_sel:WORD_1 src1_sel:DWORD
	v_add_f16_e32 v41, v19, v41
	v_mul_f16_sdwa v19, v24, s7 dst_sel:DWORD dst_unused:UNUSED_PAD src0_sel:WORD_1 src1_sel:DWORD
	v_add_f16_e32 v35, v28, v35
	v_fma_f16 v28, v24, s12, v20
	v_fma_f16 v20, v25, s5, v19
	v_add_f16_sdwa v39, v9, v39 dst_sel:DWORD dst_unused:UNUSED_PAD src0_sel:WORD_1 src1_sel:DWORD
	v_add_f16_e32 v42, v20, v42
	v_mul_f16_sdwa v20, v25, s5 dst_sel:DWORD dst_unused:UNUSED_PAD src0_sel:WORD_1 src1_sel:DWORD
	v_add_f16_sdwa v43, v9, v43 dst_sel:DWORD dst_unused:UNUSED_PAD src0_sel:WORD_1 src1_sel:DWORD
	v_add_f16_e32 v39, v28, v39
	v_fma_f16 v28, v24, s21, v20
	v_add_f16_e32 v43, v28, v43
	v_fma_f16 v19, v25, s5, -v19
	v_pk_add_f16 v28, v26, v31 neg_lo:[0,1] neg_hi:[0,1]
	v_add_f16_e32 v48, v48, v29
	v_add_f16_e32 v44, v19, v44
	v_fma_f16 v19, v24, s7, v20
	v_pk_add_f16 v29, v31, v26
	v_pk_mul_f16 v20, v28, s21 op_sel_hi:[1,0]
	v_add_f16_e32 v45, v19, v45
	v_pk_fma_f16 v19, v29, s5, v20 op_sel:[0,0,1] op_sel_hi:[1,0,0]
	v_pk_fma_f16 v20, v29, s5, v20 op_sel:[0,0,1] op_sel_hi:[1,0,0] neg_lo:[0,0,1] neg_hi:[0,0,1]
	v_bfi_b32 v26, s6, v19, v20
	v_pk_add_f16 v46, v26, v46
	v_mul_f16_sdwa v26, v28, s14 dst_sel:DWORD dst_unused:UNUSED_PAD src0_sel:WORD_1 src1_sel:DWORD
	v_fma_f16 v31, v29, s15, v26
	v_add_f16_e32 v47, v31, v47
	v_mul_f16_sdwa v31, v29, s15 dst_sel:DWORD dst_unused:UNUSED_PAD src0_sel:WORD_1 src1_sel:DWORD
	v_fma_f16 v26, v29, s15, -v26
	v_add_f16_e32 v49, v26, v49
	v_fma_f16 v26, v28, s14, v31
	v_add_f16_e32 v33, v26, v33
	v_mul_f16_sdwa v26, v28, s19 dst_sel:DWORD dst_unused:UNUSED_PAD src0_sel:WORD_1 src1_sel:DWORD
	v_fma_f16 v50, v28, s22, v31
	v_fma_f16 v31, v29, s11, v26
	v_add_f16_e32 v34, v31, v34
	v_mul_f16_sdwa v31, v29, s11 dst_sel:DWORD dst_unused:UNUSED_PAD src0_sel:WORD_1 src1_sel:DWORD
	v_fma_f16 v26, v29, s11, -v26
	v_add_f16_e32 v36, v26, v36
	v_fma_f16 v26, v28, s19, v31
	s_movk_i32 s16, 0x3770
	v_add_f16_e32 v37, v26, v37
	v_mul_f16_sdwa v26, v28, s16 dst_sel:DWORD dst_unused:UNUSED_PAD src0_sel:WORD_1 src1_sel:DWORD
	v_add_f16_e32 v48, v50, v48
	v_fma_f16 v50, v28, s10, v31
	v_fma_f16 v31, v29, s4, v26
	v_add_f16_e32 v38, v31, v38
	v_mul_f16_sdwa v31, v29, s4 dst_sel:DWORD dst_unused:UNUSED_PAD src0_sel:WORD_1 src1_sel:DWORD
	v_fma_f16 v26, v29, s4, -v26
	v_add_f16_e32 v40, v26, v40
	v_fma_f16 v26, v28, s16, v31
	v_add_f16_e32 v41, v26, v41
	v_mul_f16_sdwa v26, v28, s17 dst_sel:DWORD dst_unused:UNUSED_PAD src0_sel:WORD_1 src1_sel:DWORD
	v_add_f16_e32 v35, v50, v35
	v_fma_f16 v50, v28, s18, v31
	v_fma_f16 v31, v29, s0, v26
	v_add_f16_e32 v42, v31, v42
	v_mul_f16_sdwa v31, v29, s0 dst_sel:DWORD dst_unused:UNUSED_PAD src0_sel:WORD_1 src1_sel:DWORD
	v_fma_f16 v26, v29, s0, -v26
	v_add_f16_e32 v39, v50, v39
	v_fma_f16 v50, v28, s1, v31
	v_add_f16_e32 v44, v26, v44
	v_fma_f16 v26, v28, s17, v31
	v_pk_add_f16 v31, v30, v27
	v_pk_add_f16 v30, v27, v30 neg_lo:[0,1] neg_hi:[0,1]
	v_pk_mul_f16 v27, v30, s10 op_sel_hi:[1,0]
	v_add_f16_e32 v45, v26, v45
	v_pk_fma_f16 v26, v31, s11, v27 op_sel:[0,0,1] op_sel_hi:[1,0,0]
	v_pk_fma_f16 v27, v31, s11, v27 op_sel:[0,0,1] op_sel_hi:[1,0,0] neg_lo:[0,0,1] neg_hi:[0,0,1]
	v_add_f16_e32 v43, v50, v43
	v_bfi_b32 v50, s6, v26, v27
	v_pk_add_f16 v46, v50, v46
	v_mul_f16_sdwa v50, v30, s20 dst_sel:DWORD dst_unused:UNUSED_PAD src0_sel:WORD_1 src1_sel:DWORD
	v_fma_f16 v51, v31, s13, v50
	v_add_f16_e32 v47, v51, v47
	v_mul_f16_sdwa v51, v31, s13 dst_sel:DWORD dst_unused:UNUSED_PAD src0_sel:WORD_1 src1_sel:DWORD
	v_fma_f16 v50, v31, s13, -v50
	v_add_f16_e32 v49, v50, v49
	v_fma_f16 v50, v30, s20, v51
	v_add_f16_e32 v50, v50, v33
	v_mul_f16_sdwa v33, v30, s16 dst_sel:DWORD dst_unused:UNUSED_PAD src0_sel:WORD_1 src1_sel:DWORD
	v_fma_f16 v52, v30, s12, v51
	v_fma_f16 v51, v31, s4, v33
	v_add_f16_e32 v51, v51, v34
	v_mul_f16_sdwa v34, v31, s4 dst_sel:DWORD dst_unused:UNUSED_PAD src0_sel:WORD_1 src1_sel:DWORD
	v_fma_f16 v33, v31, s4, -v33
	v_add_f16_e32 v36, v33, v36
	v_fma_f16 v33, v30, s16, v34
	v_add_f16_e32 v37, v33, v37
	v_mul_f16_sdwa v33, v30, s21 dst_sel:DWORD dst_unused:UNUSED_PAD src0_sel:WORD_1 src1_sel:DWORD
	v_add_f16_e32 v48, v52, v48
	v_fma_f16 v52, v30, s18, v34
	v_fma_f16 v34, v31, s5, v33
	v_add_f16_e32 v38, v34, v38
	v_mul_f16_sdwa v34, v31, s5 dst_sel:DWORD dst_unused:UNUSED_PAD src0_sel:WORD_1 src1_sel:DWORD
	v_fma_f16 v33, v31, s5, -v33
	v_add_f16_e32 v40, v33, v40
	v_fma_f16 v33, v30, s21, v34
	v_add_f16_e32 v41, v33, v41
	v_mul_f16_sdwa v33, v30, s22 dst_sel:DWORD dst_unused:UNUSED_PAD src0_sel:WORD_1 src1_sel:DWORD
	v_add_f16_e32 v35, v52, v35
	v_fma_f16 v52, v30, s7, v34
	v_fma_f16 v34, v31, s15, v33
	v_add_f16_e32 v42, v34, v42
	v_mul_f16_sdwa v34, v31, s15 dst_sel:DWORD dst_unused:UNUSED_PAD src0_sel:WORD_1 src1_sel:DWORD
	v_fma_f16 v33, v31, s15, -v33
	v_add_f16_e32 v44, v33, v44
	v_fma_f16 v33, v30, s22, v34
	v_add_f16_e32 v45, v33, v45
	v_pk_add_f16 v33, v4, v7 neg_lo:[0,1] neg_hi:[0,1]
	v_add_f16_e32 v39, v52, v39
	v_fma_f16 v52, v30, s14, v34
	v_pk_add_f16 v34, v7, v4
	v_pk_mul_f16 v7, v33, s12 op_sel_hi:[1,0]
	v_pk_fma_f16 v4, v34, s13, v7 op_sel:[0,0,1] op_sel_hi:[1,0,0]
	v_pk_fma_f16 v7, v34, s13, v7 op_sel:[0,0,1] op_sel_hi:[1,0,0] neg_lo:[0,0,1] neg_hi:[0,0,1]
	v_add_f16_e32 v43, v52, v43
	v_bfi_b32 v52, s6, v4, v7
	v_pk_add_f16 v46, v52, v46
	v_mul_f16_sdwa v52, v33, s7 dst_sel:DWORD dst_unused:UNUSED_PAD src0_sel:WORD_1 src1_sel:DWORD
	v_fma_f16 v53, v34, s5, v52
	v_add_f16_e32 v47, v53, v47
	v_mul_f16_sdwa v53, v34, s5 dst_sel:DWORD dst_unused:UNUSED_PAD src0_sel:WORD_1 src1_sel:DWORD
	v_fma_f16 v52, v34, s5, -v52
	v_add_f16_e32 v49, v52, v49
	v_fma_f16 v52, v33, s7, v53
	v_add_f16_e32 v50, v52, v50
	v_mul_f16_sdwa v52, v33, s17 dst_sel:DWORD dst_unused:UNUSED_PAD src0_sel:WORD_1 src1_sel:DWORD
	v_fma_f16 v54, v33, s21, v53
	v_fma_f16 v53, v34, s0, v52
	v_add_f16_e32 v51, v53, v51
	v_mul_f16_sdwa v53, v34, s0 dst_sel:DWORD dst_unused:UNUSED_PAD src0_sel:WORD_1 src1_sel:DWORD
	v_add_f16_e32 v48, v54, v48
	v_fma_f16 v54, v33, s1, v53
	v_add_f16_e32 v54, v54, v35
	v_fma_f16 v35, v34, s0, -v52
	v_add_f16_e32 v52, v35, v36
	v_fma_f16 v35, v33, s17, v53
	v_add_f16_e32 v53, v35, v37
	v_mul_f16_sdwa v35, v33, s22 dst_sel:DWORD dst_unused:UNUSED_PAD src0_sel:WORD_1 src1_sel:DWORD
	v_fma_f16 v36, v34, s15, v35
	v_add_f16_e32 v55, v36, v38
	v_mul_f16_sdwa v36, v34, s15 dst_sel:DWORD dst_unused:UNUSED_PAD src0_sel:WORD_1 src1_sel:DWORD
	v_fma_f16 v35, v34, s15, -v35
	v_add_f16_e32 v57, v35, v40
	v_fma_f16 v35, v33, s22, v36
	v_fma_f16 v37, v33, s14, v36
	v_add_f16_e32 v58, v35, v41
	v_mul_f16_sdwa v35, v33, s16 dst_sel:DWORD dst_unused:UNUSED_PAD src0_sel:WORD_1 src1_sel:DWORD
	v_add_f16_e32 v56, v37, v39
	v_fma_f16 v36, v34, s4, v35
	v_pk_add_f16 v39, v5, v6 neg_lo:[0,1] neg_hi:[0,1]
	v_add_f16_e32 v59, v36, v42
	v_mul_f16_sdwa v36, v34, s4 dst_sel:DWORD dst_unused:UNUSED_PAD src0_sel:WORD_1 src1_sel:DWORD
	v_fma_f16 v35, v34, s4, -v35
	v_pk_add_f16 v40, v6, v5
	v_pk_mul_f16 v6, v39, s14 op_sel_hi:[1,0]
	v_add_f16_e32 v44, v35, v44
	v_fma_f16 v35, v33, s16, v36
	v_pk_fma_f16 v5, v40, s15, v6 op_sel:[0,0,1] op_sel_hi:[1,0,0]
	v_pk_fma_f16 v6, v40, s15, v6 op_sel:[0,0,1] op_sel_hi:[1,0,0] neg_lo:[0,0,1] neg_hi:[0,0,1]
	v_add_f16_e32 v45, v35, v45
	v_bfi_b32 v35, s6, v5, v6
	v_pk_add_f16 v46, v35, v46
	v_mul_f16_sdwa v35, v39, s16 dst_sel:DWORD dst_unused:UNUSED_PAD src0_sel:WORD_1 src1_sel:DWORD
	v_fma_f16 v37, v33, s18, v36
	v_fma_f16 v36, v40, s4, v35
	v_add_f16_e32 v47, v36, v47
	v_mul_f16_sdwa v36, v40, s4 dst_sel:DWORD dst_unused:UNUSED_PAD src0_sel:WORD_1 src1_sel:DWORD
	v_add_f16_e32 v43, v37, v43
	v_fma_f16 v37, v39, s18, v36
	v_add_f16_e32 v48, v37, v48
	v_mul_f16_sdwa v37, v39, s12 dst_sel:DWORD dst_unused:UNUSED_PAD src0_sel:WORD_1 src1_sel:DWORD
	v_fma_f16 v35, v40, s4, -v35
	v_fma_f16 v38, v40, s13, v37
	v_add_f16_e32 v35, v35, v49
	v_add_f16_e32 v49, v38, v51
	v_mul_f16_sdwa v38, v40, s13 dst_sel:DWORD dst_unused:UNUSED_PAD src0_sel:WORD_1 src1_sel:DWORD
	v_fma_f16 v36, v39, s16, v36
	v_fma_f16 v41, v39, s20, v38
	v_add_f16_e32 v36, v36, v50
	v_add_f16_e32 v50, v41, v54
	v_mul_f16_sdwa v41, v39, s1 dst_sel:DWORD dst_unused:UNUSED_PAD src0_sel:WORD_1 src1_sel:DWORD
	v_fma_f16 v42, v40, s0, v41
	v_fma_f16 v37, v40, s13, -v37
	v_add_f16_e32 v51, v42, v55
	v_mul_f16_sdwa v42, v40, s0 dst_sel:DWORD dst_unused:UNUSED_PAD src0_sel:WORD_1 src1_sel:DWORD
	v_add_f16_e32 v37, v37, v52
	v_fma_f16 v38, v39, s12, v38
	v_fma_f16 v52, v39, s17, v42
	v_mul_f16_sdwa v55, v40, s11 dst_sel:DWORD dst_unused:UNUSED_PAD src0_sel:WORD_1 src1_sel:DWORD
	v_add_f16_e32 v38, v38, v53
	v_add_f16_e32 v52, v52, v56
	v_mul_f16_sdwa v53, v39, s10 dst_sel:DWORD dst_unused:UNUSED_PAD src0_sel:WORD_1 src1_sel:DWORD
	v_fma_f16 v56, v39, s19, v55
	v_add_f16_e32 v56, v56, v43
	v_fma_f16 v43, v40, s11, -v53
	v_mad_u32_u24 v8, v0, 48, v1
	v_fma_f16 v54, v40, s11, v53
	v_add_f16_e32 v43, v43, v44
	v_fma_f16 v44, v39, s10, v55
	v_add_f16_e32 v54, v54, v59
	v_add_f16_e32 v44, v44, v45
	s_waitcnt lgkmcnt(0)
	; wave barrier
	ds_write2_b32 v8, v32, v46 offset1:1
	v_pack_b32_f16 v32, v49, v50
	v_pack_b32_f16 v45, v47, v48
	ds_write2_b32 v8, v45, v32 offset0:2 offset1:3
	v_pack_b32_f16 v32, v54, v56
	v_pack_b32_f16 v45, v51, v52
	v_pk_mul_f16 v18, v18, s15 op_sel_hi:[1,0]
	ds_write2_b32 v8, v45, v32 offset0:4 offset1:5
	v_pk_fma_f16 v32, v17, s14, v18 op_sel:[0,0,1] op_sel_hi:[1,0,0]
	v_pk_fma_f16 v17, v17, s14, v18 op_sel:[0,0,1] op_sel_hi:[1,0,0] neg_lo:[1,0,0] neg_hi:[1,0,0]
	v_alignbit_b32 v18, s0, v9, 16
	v_pk_mul_f16 v25, v25, s4 op_sel_hi:[1,0]
	v_alignbit_b32 v45, s0, v32, 16
	v_pk_add_f16 v17, v9, v17 op_sel:[1,0] op_sel_hi:[0,1]
	v_pk_add_f16 v18, v18, v32
	v_pk_fma_f16 v32, v24, s16, v25 op_sel:[0,0,1] op_sel_hi:[1,0,0]
	v_pk_fma_f16 v24, v24, s16, v25 op_sel:[0,0,1] op_sel_hi:[1,0,0] neg_lo:[1,0,0] neg_hi:[1,0,0]
	v_pk_add_f16 v17, v24, v17
	v_pk_mul_f16 v24, v29, s13 op_sel_hi:[1,0]
	v_pk_fma_f16 v25, v28, s12, v24 op_sel:[0,0,1] op_sel_hi:[1,0,0]
	v_pk_fma_f16 v24, v28, s12, v24 op_sel:[0,0,1] op_sel_hi:[1,0,0] neg_lo:[1,0,0] neg_hi:[1,0,0]
	v_pk_add_f16 v18, v32, v18
	v_pk_add_f16 v17, v24, v17
	v_pk_mul_f16 v24, v31, s0 op_sel_hi:[1,0]
	v_alignbit_b32 v29, s0, v25, 16
	v_pk_add_f16 v18, v25, v18
	v_pk_fma_f16 v25, v30, s1, v24 op_sel:[0,0,1] op_sel_hi:[1,0,0]
	v_pk_fma_f16 v24, v30, s1, v24 op_sel:[0,0,1] op_sel_hi:[1,0,0] neg_lo:[1,0,0] neg_hi:[1,0,0]
	v_pk_add_f16 v45, v9, v45
	v_alignbit_b32 v46, s0, v32, 16
	v_pk_add_f16 v17, v24, v17
	v_pk_mul_f16 v24, v34, s11 op_sel_hi:[1,0]
	v_pk_add_f16 v45, v46, v45
	v_alignbit_b32 v28, s0, v25, 16
	v_pk_add_f16 v18, v25, v18
	v_pk_fma_f16 v25, v33, s10, v24 op_sel:[0,0,1] op_sel_hi:[1,0,0]
	v_pk_fma_f16 v24, v33, s10, v24 op_sel:[0,0,1] op_sel_hi:[1,0,0] neg_lo:[1,0,0] neg_hi:[1,0,0]
	v_pk_add_f16 v29, v29, v45
	v_pk_add_f16 v17, v24, v17
	v_pk_mul_f16 v24, v40, s5 op_sel_hi:[1,0]
	v_bfi_b32 v13, s6, v14, v13
	v_pk_add_f16 v28, v28, v29
	v_alignbit_b32 v29, s0, v25, 16
	v_pk_add_f16 v18, v25, v18
	v_pk_fma_f16 v25, v39, s7, v24 op_sel:[0,0,1] op_sel_hi:[1,0,0]
	v_pk_add_f16 v9, v9, v13
	v_bfi_b32 v13, s6, v16, v15
	v_pk_add_f16 v28, v29, v28
	v_alignbit_b32 v29, s0, v25, 16
	v_pk_fma_f16 v24, v39, s7, v24 op_sel:[0,0,1] op_sel_hi:[1,0,0] neg_lo:[1,0,0] neg_hi:[1,0,0]
	v_pk_add_f16 v9, v13, v9
	v_bfi_b32 v13, s6, v20, v19
	v_fma_f16 v41, v40, s0, -v41
	v_fma_f16 v42, v39, s1, v42
	v_pk_add_f16 v28, v29, v28
	v_pk_add_f16 v17, v24, v17
	v_pk_add_f16 v18, v25, v18
	v_pk_add_f16 v9, v13, v9
	v_bfi_b32 v13, s6, v27, v26
	v_add_f16_e32 v41, v41, v57
	v_add_f16_e32 v42, v42, v58
	v_alignbit_b32 v18, v18, v17, 16
	v_pack_b32_f16 v17, v28, v17
	v_pk_add_f16 v9, v13, v9
	v_bfi_b32 v4, s6, v7, v4
	ds_write2_b32 v8, v17, v18 offset0:6 offset1:7
	v_pack_b32_f16 v17, v41, v42
	v_pack_b32_f16 v18, v43, v44
	v_pk_add_f16 v4, v4, v9
	v_bfi_b32 v5, s6, v6, v5
	ds_write2_b32 v8, v18, v17 offset0:8 offset1:9
	v_pack_b32_f16 v17, v35, v36
	v_pack_b32_f16 v18, v37, v38
	v_pk_add_f16 v4, v5, v4
	ds_write2_b32 v8, v18, v17 offset0:10 offset1:11
	ds_write_b32 v8, v4 offset:48
	s_waitcnt lgkmcnt(0)
	; wave barrier
	s_waitcnt lgkmcnt(0)
	ds_read2_b32 v[8:9], v1 offset0:160 offset1:208
	ds_read2_b32 v[17:18], v1 offset0:32 offset1:64
	;; [unrolled: 1-line block ×5, first 2 shown]
	ds_read_b32 v11, v22
	ds_read_b32 v13, v1 offset:1472
	v_cmp_gt_u32_e64 s[0:1], 16, v0
	v_lshrrev_b32_e32 v12, 16, v4
                                        ; implicit-def: $vgpr16
	s_and_saveexec_b64 s[4:5], s[0:1]
	s_cbranch_execz .LBB0_21
; %bb.20:
	v_add_u32_e32 v4, 0x300, v1
	ds_read2_b32 v[4:5], v4 offset1:208
	s_waitcnt lgkmcnt(0)
	v_lshrrev_b32_e32 v12, 16, v4
	v_lshrrev_b32_e32 v16, 16, v5
.LBB0_21:
	s_or_b64 exec, exec, s[4:5]
	v_or_b32_e32 v26, 64, v0
	v_mul_lo_u16_e32 v27, 0x4f, v26
	v_lshrrev_b16_e32 v29, 10, v27
	v_mul_lo_u16_e32 v27, 13, v29
	v_sub_u16_e32 v26, v26, v27
	v_or_b32_e32 v27, 0x60, v0
	v_mul_lo_u16_e32 v28, 0x4f, v27
	v_lshrrev_b16_e32 v30, 10, v28
	v_mul_lo_u16_e32 v28, 13, v30
	v_sub_u16_e32 v31, v27, v28
	;; [unrolled: 5-line block ×3, first 2 shown]
	v_or_b32_e32 v27, 0xa0, v0
	v_mul_lo_u16_e32 v28, 0x4f, v27
	v_lshrrev_b16_e32 v34, 10, v28
	v_mul_lo_u16_e32 v28, 13, v34
	v_mul_lo_u16_e32 v24, 20, v0
	v_sub_u16_e32 v35, v27, v28
	v_mul_lo_u16_e32 v27, 0x4f, v10
	v_lshrrev_b16_e32 v24, 8, v24
	v_lshrrev_b16_e32 v27, 10, v27
	v_mul_lo_u16_e32 v25, 13, v24
	v_mul_lo_u16_e32 v28, 13, v27
	v_sub_u16_e32 v25, v0, v25
	v_sub_u16_e32 v10, v10, v28
	v_mov_b32_e32 v36, 2
	v_lshlrev_b32_sdwa v28, v36, v10 dst_sel:DWORD dst_unused:UNUSED_PAD src0_sel:DWORD src1_sel:BYTE_0
	v_lshlrev_b32_sdwa v25, v36, v25 dst_sel:DWORD dst_unused:UNUSED_PAD src0_sel:DWORD src1_sel:BYTE_0
	global_load_dword v10, v28, s[8:9]
	global_load_dword v37, v25, s[8:9]
	v_lshlrev_b32_sdwa v33, v36, v33 dst_sel:DWORD dst_unused:UNUSED_PAD src0_sel:DWORD src1_sel:BYTE_0
	v_lshlrev_b32_sdwa v35, v36, v35 dst_sel:DWORD dst_unused:UNUSED_PAD src0_sel:DWORD src1_sel:BYTE_0
	global_load_dword v38, v33, s[8:9]
	global_load_dword v39, v35, s[8:9]
	v_or_b32_e32 v42, 32, v0
	v_mul_lo_u16_e32 v43, 20, v42
	v_lshlrev_b32_sdwa v31, v36, v31 dst_sel:DWORD dst_unused:UNUSED_PAD src0_sel:DWORD src1_sel:BYTE_0
	v_lshrrev_b16_e32 v43, 8, v43
	v_lshlrev_b32_sdwa v26, v36, v26 dst_sel:DWORD dst_unused:UNUSED_PAD src0_sel:DWORD src1_sel:BYTE_0
	global_load_dword v40, v31, s[8:9]
	global_load_dword v41, v26, s[8:9]
	v_mul_lo_u16_e32 v44, 13, v43
	v_sub_u16_e32 v42, v42, v44
	v_lshlrev_b32_sdwa v36, v36, v42 dst_sel:DWORD dst_unused:UNUSED_PAD src0_sel:DWORD src1_sel:BYTE_0
	global_load_dword v42, v36, s[8:9]
	s_movk_i32 s7, 0x68
	v_mad_u32_u24 v24, v24, s7, 0
	v_mad_u32_u24 v29, v29, s7, 0
	v_add3_u32 v44, v24, v25, v23
	v_add3_u32 v29, v29, v26, v23
	v_mad_u32_u24 v43, v43, s7, 0
	v_add3_u32 v36, v43, v36, v23
	v_mad_u32_u24 v30, v30, s7, 0
	v_add3_u32 v30, v30, v31, v23
	s_waitcnt lgkmcnt(0)
	; wave barrier
	s_waitcnt vmcnt(6) lgkmcnt(0)
	v_mul_f16_sdwa v24, v16, v10 dst_sel:DWORD dst_unused:UNUSED_PAD src0_sel:DWORD src1_sel:WORD_1
	v_mul_f16_sdwa v25, v5, v10 dst_sel:DWORD dst_unused:UNUSED_PAD src0_sel:DWORD src1_sel:WORD_1
	s_waitcnt vmcnt(5)
	v_pk_mul_f16 v26, v37, v9 op_sel:[0,1]
	v_fma_f16 v5, v5, v10, v24
	v_fma_f16 v10, v16, v10, -v25
	v_pk_fma_f16 v16, v37, v9, v26 op_sel:[0,0,1] op_sel_hi:[1,0,0] neg_lo:[1,0,0] neg_hi:[1,0,0]
	v_pk_fma_f16 v9, v37, v9, v26 op_sel:[0,0,1] op_sel_hi:[1,0,0]
	s_waitcnt vmcnt(4)
	v_pk_mul_f16 v24, v38, v7 op_sel:[0,1]
	s_waitcnt vmcnt(3)
	v_pk_mul_f16 v25, v39, v13 op_sel:[0,1]
	v_bfi_b32 v9, s6, v9, v16
	v_pk_fma_f16 v43, v38, v7, v24 op_sel:[0,0,1] op_sel_hi:[1,0,0] neg_lo:[1,0,0] neg_hi:[1,0,0]
	v_pk_fma_f16 v7, v38, v7, v24 op_sel:[0,0,1] op_sel_hi:[1,0,0]
	v_pk_fma_f16 v24, v39, v13, v25 op_sel:[0,0,1] op_sel_hi:[1,0,0] neg_lo:[1,0,0] neg_hi:[1,0,0]
	v_pk_fma_f16 v13, v39, v13, v25 op_sel:[0,0,1] op_sel_hi:[1,0,0]
	v_sub_f16_e32 v16, v4, v5
	v_sub_f16_e32 v26, v12, v10
	v_pk_add_f16 v10, v11, v9 neg_lo:[0,1] neg_hi:[0,1]
	v_bfi_b32 v9, s6, v13, v24
	s_waitcnt vmcnt(2)
	v_pk_mul_f16 v31, v40, v6 op_sel:[0,1]
	s_waitcnt vmcnt(1)
	v_pk_mul_f16 v37, v41, v15 op_sel:[0,1]
	v_fma_f16 v5, v4, 2.0, -v16
	v_pk_add_f16 v4, v8, v9 neg_lo:[0,1] neg_hi:[0,1]
	v_pk_fma_f16 v38, v40, v6, v31 op_sel:[0,0,1] op_sel_hi:[1,1,0]
	v_pk_fma_f16 v6, v40, v6, v31 op_sel:[0,0,1] op_sel_hi:[1,0,0] neg_lo:[1,0,0] neg_hi:[1,0,0]
	v_pk_fma_f16 v31, v41, v15, v37 op_sel:[0,0,1] op_sel_hi:[1,1,0]
	v_pk_fma_f16 v13, v8, 2.0, v4 op_sel_hi:[1,0,1] neg_lo:[0,0,1] neg_hi:[0,0,1]
	v_pk_fma_f16 v8, v41, v15, v37 op_sel:[0,0,1] op_sel_hi:[1,0,0] neg_lo:[1,0,0] neg_hi:[1,0,0]
	v_bfi_b32 v8, s6, v31, v8
	v_pk_fma_f16 v24, v11, 2.0, v10 op_sel_hi:[1,0,1] neg_lo:[0,0,1] neg_hi:[0,0,1]
	v_pk_add_f16 v8, v18, v8 neg_lo:[0,1] neg_hi:[0,1]
	s_waitcnt vmcnt(0)
	v_pk_mul_f16 v11, v42, v14 op_sel:[0,1]
	v_pk_fma_f16 v15, v18, 2.0, v8 op_sel_hi:[1,0,1] neg_lo:[0,0,1] neg_hi:[0,0,1]
	v_pk_fma_f16 v18, v42, v14, v11 op_sel:[0,0,1] op_sel_hi:[1,1,0]
	v_pk_fma_f16 v11, v42, v14, v11 op_sel:[0,0,1] op_sel_hi:[1,0,0] neg_lo:[1,0,0] neg_hi:[1,0,0]
	v_bfi_b32 v11, s6, v18, v11
	v_bfi_b32 v7, s6, v7, v43
	v_pk_add_f16 v14, v17, v11 neg_lo:[0,1] neg_hi:[0,1]
	v_fma_f16 v25, v12, 2.0, -v26
	v_bfi_b32 v6, s6, v38, v6
	v_pk_add_f16 v12, v20, v7 neg_lo:[0,1] neg_hi:[0,1]
	v_pk_fma_f16 v11, v17, 2.0, v14 op_sel_hi:[1,0,1] neg_lo:[0,0,1] neg_hi:[0,0,1]
	v_mad_u32_u24 v17, v32, s7, 0
	v_pk_add_f16 v6, v19, v6 neg_lo:[0,1] neg_hi:[0,1]
	v_pk_fma_f16 v7, v20, 2.0, v12 op_sel_hi:[1,0,1] neg_lo:[0,0,1] neg_hi:[0,0,1]
	v_add3_u32 v17, v17, v33, v23
	v_pk_fma_f16 v9, v19, 2.0, v6 op_sel_hi:[1,0,1] neg_lo:[0,0,1] neg_hi:[0,0,1]
	ds_write2_b32 v44, v24, v10 offset1:13
	ds_write2_b32 v36, v11, v14 offset1:13
	;; [unrolled: 1-line block ×5, first 2 shown]
	v_mad_u32_u24 v17, v34, s7, 0
	v_add3_u32 v17, v17, v35, v23
	ds_write2_b32 v17, v13, v4 offset1:13
	s_and_saveexec_b64 s[4:5], s[0:1]
	s_cbranch_execz .LBB0_23
; %bb.22:
	v_mad_u32_u24 v17, v27, s7, 0
	s_mov_b32 s0, 0x5040100
	v_add3_u32 v17, v17, v28, v23
	v_perm_b32 v18, v25, v5, s0
	v_perm_b32 v19, v26, v16, s0
	ds_write2_b32 v17, v18, v19 offset1:13
.LBB0_23:
	s_or_b64 exec, exec, s[4:5]
	v_cmp_gt_u32_e64 s[0:1], 26, v0
	v_lshrrev_b32_e32 v23, 16, v10
	v_lshrrev_b32_e32 v19, 16, v9
	;; [unrolled: 1-line block ×7, first 2 shown]
	s_waitcnt lgkmcnt(0)
	; wave barrier
	s_waitcnt lgkmcnt(0)
                                        ; implicit-def: $vgpr30
                                        ; implicit-def: $vgpr32
                                        ; implicit-def: $vgpr31
	s_and_saveexec_b64 s[4:5], s[0:1]
	s_cbranch_execz .LBB0_25
; %bb.24:
	ds_read2_b32 v[10:11], v1 offset0:26 offset1:52
	ds_read2_b32 v[14:15], v1 offset0:78 offset1:104
	;; [unrolled: 1-line block ×4, first 2 shown]
	v_add_u32_e32 v12, 0x200, v1
	v_add_u32_e32 v13, 0x400, v1
	ds_read2_b32 v[4:5], v13 offset0:30 offset1:56
	ds_read2_b32 v[16:17], v13 offset0:82 offset1:108
	ds_read_b32 v24, v22
	ds_read_b32 v31, v1 offset:1560
	ds_read2_b32 v[12:13], v12 offset0:106 offset1:132
	s_waitcnt lgkmcnt(4)
	v_lshrrev_b32_e32 v25, 16, v5
	s_waitcnt lgkmcnt(3)
	v_lshrrev_b32_e32 v26, 16, v16
	v_lshrrev_b32_e32 v30, 16, v17
	s_waitcnt lgkmcnt(1)
	v_lshrrev_b32_e32 v32, 16, v31
	v_lshrrev_b32_e32 v23, 16, v10
	;; [unrolled: 1-line block ×8, first 2 shown]
.LBB0_25:
	s_or_b64 exec, exec, s[4:5]
	s_waitcnt lgkmcnt(0)
	; wave barrier
	s_waitcnt lgkmcnt(0)
	s_and_saveexec_b64 s[4:5], s[0:1]
	s_cbranch_execz .LBB0_27
; %bb.26:
	v_subrev_u32_e32 v33, 26, v0
	v_cndmask_b32_e64 v33, v33, v0, s[0:1]
	v_mul_i32_i24_e32 v33, 15, v33
	v_mov_b32_e32 v34, 0
	v_lshlrev_b64 v[33:34], 2, v[33:34]
	v_mov_b32_e32 v35, s9
	v_add_co_u32_e64 v48, s[0:1], s8, v33
	v_addc_co_u32_e64 v49, s[0:1], v35, v34, s[0:1]
	global_load_dwordx4 v[33:36], v[48:49], off offset:52
	global_load_dwordx4 v[37:40], v[48:49], off offset:84
	;; [unrolled: 1-line block ×3, first 2 shown]
	global_load_dwordx3 v[45:47], v[48:49], off offset:100
	v_lshrrev_b32_e32 v49, 16, v4
	v_lshrrev_b32_e32 v50, 16, v7
	;; [unrolled: 1-line block ×4, first 2 shown]
	s_movk_i32 s0, 0x39a8
	s_mov_b32 s1, 0xb9a8
	s_mov_b32 s6, 0xb61f
	s_movk_i32 s7, 0x3b64
	s_mov_b32 s8, 0xbb64
	s_movk_i32 s9, 0x361f
	s_waitcnt vmcnt(3)
	v_mul_f16_sdwa v56, v14, v35 dst_sel:DWORD dst_unused:UNUSED_PAD src0_sel:DWORD src1_sel:WORD_1
	v_mul_f16_sdwa v52, v10, v33 dst_sel:DWORD dst_unused:UNUSED_PAD src0_sel:DWORD src1_sel:WORD_1
	s_waitcnt vmcnt(2)
	v_mul_f16_sdwa v53, v12, v37 dst_sel:DWORD dst_unused:UNUSED_PAD src0_sel:DWORD src1_sel:WORD_1
	s_waitcnt vmcnt(0)
	v_mul_f16_sdwa v55, v26, v45 dst_sel:DWORD dst_unused:UNUSED_PAD src0_sel:DWORD src1_sel:WORD_1
	v_mul_f16_sdwa v59, v32, v47 dst_sel:DWORD dst_unused:UNUSED_PAD src0_sel:DWORD src1_sel:WORD_1
	;; [unrolled: 1-line block ×4, first 2 shown]
	v_fma_f16 v55, v16, v45, v55
	v_mul_f16_sdwa v16, v16, v45 dst_sel:DWORD dst_unused:UNUSED_PAD src0_sel:DWORD src1_sel:WORD_1
	v_fma_f16 v59, v31, v47, v59
	v_mul_f16_sdwa v31, v31, v47 dst_sel:DWORD dst_unused:UNUSED_PAD src0_sel:DWORD src1_sel:WORD_1
	v_mul_f16_sdwa v54, v18, v41 dst_sel:DWORD dst_unused:UNUSED_PAD src0_sel:DWORD src1_sel:WORD_1
	;; [unrolled: 1-line block ×3, first 2 shown]
	v_fma_f16 v17, v17, v46, v60
	v_mul_f16_sdwa v60, v29, v35 dst_sel:DWORD dst_unused:UNUSED_PAD src0_sel:DWORD src1_sel:WORD_1
	v_fma_f16 v31, v32, v47, -v31
	v_mul_f16_sdwa v32, v49, v39 dst_sel:DWORD dst_unused:UNUSED_PAD src0_sel:DWORD src1_sel:WORD_1
	v_fma_f16 v30, v30, v46, -v61
	;; [unrolled: 2-line block ×3, first 2 shown]
	v_mul_f16_sdwa v26, v50, v44 dst_sel:DWORD dst_unused:UNUSED_PAD src0_sel:DWORD src1_sel:WORD_1
	v_mul_f16_sdwa v45, v15, v36 dst_sel:DWORD dst_unused:UNUSED_PAD src0_sel:DWORD src1_sel:WORD_1
	;; [unrolled: 1-line block ×4, first 2 shown]
	v_fma_f16 v29, v29, v35, -v56
	v_mul_f16_sdwa v56, v13, v38 dst_sel:DWORD dst_unused:UNUSED_PAD src0_sel:DWORD src1_sel:WORD_1
	v_mul_f16_sdwa v58, v28, v43 dst_sel:DWORD dst_unused:UNUSED_PAD src0_sel:DWORD src1_sel:WORD_1
	v_fma_f16 v49, v49, v39, -v57
	v_mul_f16_sdwa v57, v19, v42 dst_sel:DWORD dst_unused:UNUSED_PAD src0_sel:DWORD src1_sel:WORD_1
	v_fma_f16 v28, v28, v43, -v46
	;; [unrolled: 2-line block ×7, first 2 shown]
	v_fma_f16 v54, v8, v41, v54
	v_fma_f16 v4, v4, v39, v32
	;; [unrolled: 1-line block ×3, first 2 shown]
	v_fma_f16 v32, v25, v40, -v47
	v_mul_f16_sdwa v48, v48, v37 dst_sel:DWORD dst_unused:UNUSED_PAD src0_sel:DWORD src1_sel:WORD_1
	v_mul_f16_sdwa v8, v8, v41 dst_sel:DWORD dst_unused:UNUSED_PAD src0_sel:DWORD src1_sel:WORD_1
	;; [unrolled: 1-line block ×4, first 2 shown]
	v_fma_f16 v6, v6, v43, v58
	v_fma_f16 v14, v14, v35, v60
	;; [unrolled: 1-line block ×5, first 2 shown]
	v_fma_f16 v19, v19, v42, -v56
	v_fma_f16 v10, v10, v33, v23
	v_fma_f16 v15, v15, v36, v20
	;; [unrolled: 1-line block ×3, first 2 shown]
	v_fma_f16 v8, v18, v41, -v8
	v_fma_f16 v7, v50, v44, -v7
	v_lshrrev_b32_e32 v44, 16, v24
	v_fma_f16 v5, v5, v40, v25
	v_sub_f16_e32 v20, v52, v53
	v_sub_f16_e32 v23, v54, v55
	;; [unrolled: 1-line block ×18, first 2 shown]
	v_add_f16_e32 v39, v4, v31
	v_add_f16_e32 v42, v26, v32
	v_sub_f16_e32 v43, v35, v17
	v_add_f16_e32 v46, v13, v30
	v_add_f16_e32 v18, v12, v16
	v_sub_f16_e32 v25, v7, v5
	v_fma_f16 v47, v38, s0, v36
	v_fma_f16 v51, v46, s0, v42
	;; [unrolled: 1-line block ×8, first 2 shown]
	v_fma_f16 v49, v36, 2.0, -v47
	v_fma_f16 v37, v42, 2.0, -v51
	;; [unrolled: 1-line block ×19, first 2 shown]
	v_fma_f16 v53, v48, s6, v37
	v_fma_f16 v42, v26, 2.0, -v42
	v_sub_f16_e32 v8, v20, v8
	v_sub_f16_e32 v6, v4, v6
	v_fma_f16 v16, v24, 2.0, -v26
	v_fma_f16 v5, v15, 2.0, -v5
	v_fma_f16 v15, v27, 2.0, -v35
	v_fma_f16 v19, v19, 2.0, -v30
	v_fma_f16 v26, v28, 2.0, -v31
	v_sub_f16_e32 v29, v7, v29
	v_sub_f16_e32 v9, v11, v9
	v_fma_f16 v53, v49, s7, v53
	v_fma_f16 v49, v49, s6, v50
	v_fma_f16 v38, v33, 2.0, -v38
	v_fma_f16 v46, v13, 2.0, -v46
	v_sub_f16_e32 v14, v8, v6
	v_sub_f16_e32 v5, v16, v5
	;; [unrolled: 1-line block ×6, first 2 shown]
	v_fma_f16 v48, v48, s8, v49
	v_fma_f16 v49, v38, s1, v36
	v_add_f16_e32 v24, v5, v19
	v_add_f16_e32 v27, v12, v26
	v_fma_f16 v17, v14, s0, v13
	v_fma_f16 v49, v39, s1, v49
	v_fma_f16 v43, v35, 2.0, -v43
	v_fma_f16 v55, v46, s1, v42
	v_fma_f16 v39, v39, s1, v18
	v_fma_f16 v28, v27, s0, v24
	v_fma_f16 v17, v27, s1, v17
	v_fma_f16 v32, v5, 2.0, -v24
	v_fma_f16 v27, v12, 2.0, -v27
	v_fma_f16 v55, v43, s0, v55
	v_fma_f16 v38, v38, s0, v39
	;; [unrolled: 1-line block ×4, first 2 shown]
	v_fma_f16 v14, v8, 2.0, -v14
	v_fma_f16 v33, v27, s1, v32
	v_fma_f16 v5, v16, 2.0, -v5
	v_fma_f16 v9, v11, 2.0, -v9
	;; [unrolled: 1-line block ×8, first 2 shown]
	v_fma_f16 v43, v46, s1, v43
	v_fma_f16 v33, v14, s0, v33
	v_sub_f16_e32 v9, v5, v9
	v_sub_f16_e32 v11, v8, v11
	;; [unrolled: 1-line block ×4, first 2 shown]
	v_fma_f16 v26, v42, 2.0, -v55
	v_fma_f16 v18, v18, 2.0, -v38
	;; [unrolled: 1-line block ×3, first 2 shown]
	v_sub_f16_e32 v6, v15, v4
	v_fma_f16 v12, v32, 2.0, -v33
	v_fma_f16 v29, v36, 2.0, -v49
	v_fma_f16 v32, v18, s8, v26
	v_fma_f16 v25, v25, 2.0, -v43
	v_fma_f16 v5, v5, 2.0, -v9
	;; [unrolled: 1-line block ×5, first 2 shown]
	v_fma_f16 v14, v14, s1, v34
	v_fma_f16 v32, v29, s9, v32
	;; [unrolled: 1-line block ×3, first 2 shown]
	v_sub_f16_e32 v4, v5, v4
	v_sub_f16_e32 v8, v7, v8
	v_fma_f16 v14, v27, s1, v14
	v_fma_f16 v18, v18, s6, v29
	v_fma_f16 v5, v5, 2.0, -v4
	v_fma_f16 v7, v7, 2.0, -v8
	v_fma_f16 v39, v38, s9, v55
	v_fma_f16 v46, v49, s9, v43
	;; [unrolled: 1-line block ×3, first 2 shown]
	v_add_f16_e32 v16, v9, v11
	v_fma_f16 v19, v34, 2.0, -v14
	v_fma_f16 v26, v26, 2.0, -v32
	;; [unrolled: 1-line block ×3, first 2 shown]
	v_pack_b32_f16 v5, v5, v7
	v_fma_f16 v39, v49, s7, v39
	v_fma_f16 v46, v38, s8, v46
	;; [unrolled: 1-line block ×4, first 2 shown]
	v_fma_f16 v27, v37, 2.0, -v53
	v_fma_f16 v35, v50, 2.0, -v48
	;; [unrolled: 1-line block ×4, first 2 shown]
	ds_write_b32 v22, v5
	v_pack_b32_f16 v5, v26, v25
	v_pack_b32_f16 v7, v12, v19
	v_fma_f16 v41, v41, s6, v47
	v_fma_f16 v30, v55, 2.0, -v39
	v_fma_f16 v31, v43, 2.0, -v46
	;; [unrolled: 1-line block ×4, first 2 shown]
	ds_write2_b32 v1, v5, v7 offset0:26 offset1:52
	v_pack_b32_f16 v5, v27, v35
	v_pack_b32_f16 v7, v20, v23
	v_fma_f16 v51, v51, 2.0, -v56
	v_fma_f16 v40, v40, 2.0, -v41
	ds_write2_b32 v1, v5, v7 offset0:78 offset1:104
	v_pack_b32_f16 v5, v30, v31
	v_pack_b32_f16 v7, v9, v10
	ds_write2_b32 v1, v5, v7 offset0:130 offset1:156
	v_pack_b32_f16 v5, v51, v40
	v_pack_b32_f16 v4, v4, v8
	;; [unrolled: 3-line block ×3, first 2 shown]
	v_add_u32_e32 v7, 0x200, v1
	ds_write2_b32 v7, v4, v5 offset0:106 offset1:132
	v_pack_b32_f16 v4, v53, v48
	v_pack_b32_f16 v5, v16, v6
	v_add_u32_e32 v6, 0x400, v1
	ds_write2_b32 v6, v4, v5 offset0:30 offset1:56
	v_pack_b32_f16 v4, v39, v46
	v_pack_b32_f16 v5, v28, v17
	ds_write2_b32 v6, v4, v5 offset0:82 offset1:108
	v_pack_b32_f16 v4, v56, v41
	ds_write_b32 v1, v4 offset:1560
.LBB0_27:
	s_or_b64 exec, exec, s[4:5]
	s_waitcnt lgkmcnt(0)
	; wave barrier
	s_waitcnt lgkmcnt(0)
	s_and_saveexec_b64 s[0:1], vcc
	s_cbranch_execz .LBB0_29
; %bb.28:
	v_lshl_add_u32 v6, v0, 2, v21
	v_mov_b32_e32 v1, 0
	ds_read2_b32 v[4:5], v6 offset1:32
	v_mov_b32_e32 v7, s3
	v_add_co_u32_e32 v8, vcc, s2, v2
	v_addc_co_u32_e32 v7, vcc, v7, v3, vcc
	v_lshlrev_b64 v[2:3], 2, v[0:1]
	v_add_u32_e32 v9, 0x400, v6
	v_add_co_u32_e32 v2, vcc, v8, v2
	v_addc_co_u32_e32 v3, vcc, v7, v3, vcc
	s_waitcnt lgkmcnt(0)
	global_store_dword v[2:3], v4, off
	v_add_u32_e32 v2, 32, v0
	v_mov_b32_e32 v3, v1
	v_lshlrev_b64 v[2:3], 2, v[2:3]
	v_add_co_u32_e32 v2, vcc, v8, v2
	v_addc_co_u32_e32 v3, vcc, v7, v3, vcc
	global_store_dword v[2:3], v5, off
	v_add_u32_e32 v2, 64, v0
	v_mov_b32_e32 v3, v1
	ds_read2_b32 v[4:5], v6 offset0:64 offset1:96
	v_lshlrev_b64 v[2:3], 2, v[2:3]
	v_add_co_u32_e32 v2, vcc, v8, v2
	v_addc_co_u32_e32 v3, vcc, v7, v3, vcc
	s_waitcnt lgkmcnt(0)
	global_store_dword v[2:3], v4, off
	v_add_u32_e32 v2, 0x60, v0
	v_mov_b32_e32 v3, v1
	v_lshlrev_b64 v[2:3], 2, v[2:3]
	v_add_co_u32_e32 v2, vcc, v8, v2
	v_addc_co_u32_e32 v3, vcc, v7, v3, vcc
	global_store_dword v[2:3], v5, off
	v_add_u32_e32 v2, 0x80, v0
	v_mov_b32_e32 v3, v1
	ds_read2_b32 v[4:5], v6 offset0:128 offset1:160
	v_lshlrev_b64 v[2:3], 2, v[2:3]
	;; [unrolled: 14-line block ×3, first 2 shown]
	v_add_co_u32_e32 v2, vcc, v8, v2
	v_addc_co_u32_e32 v3, vcc, v7, v3, vcc
	s_waitcnt lgkmcnt(0)
	global_store_dword v[2:3], v4, off
	v_add_u32_e32 v2, 0xe0, v0
	v_mov_b32_e32 v3, v1
	v_lshlrev_b64 v[2:3], 2, v[2:3]
	v_add_co_u32_e32 v2, vcc, v8, v2
	v_addc_co_u32_e32 v3, vcc, v7, v3, vcc
	global_store_dword v[2:3], v5, off
	v_add_u32_e32 v2, 0x100, v0
	v_mov_b32_e32 v3, v1
	ds_read2_b32 v[4:5], v9 offset1:32
	v_lshlrev_b64 v[2:3], 2, v[2:3]
	v_add_co_u32_e32 v2, vcc, v8, v2
	v_addc_co_u32_e32 v3, vcc, v7, v3, vcc
	s_waitcnt lgkmcnt(0)
	global_store_dword v[2:3], v4, off
	v_add_u32_e32 v2, 0x120, v0
	v_mov_b32_e32 v3, v1
	v_lshlrev_b64 v[2:3], 2, v[2:3]
	v_add_co_u32_e32 v2, vcc, v8, v2
	v_addc_co_u32_e32 v3, vcc, v7, v3, vcc
	global_store_dword v[2:3], v5, off
	v_add_u32_e32 v2, 0x140, v0
	v_mov_b32_e32 v3, v1
	ds_read2_b32 v[4:5], v9 offset0:64 offset1:96
	v_lshlrev_b64 v[2:3], 2, v[2:3]
	v_add_co_u32_e32 v2, vcc, v8, v2
	v_addc_co_u32_e32 v3, vcc, v7, v3, vcc
	s_waitcnt lgkmcnt(0)
	global_store_dword v[2:3], v4, off
	v_add_u32_e32 v2, 0x160, v0
	v_mov_b32_e32 v3, v1
	v_lshlrev_b64 v[2:3], 2, v[2:3]
	v_add_u32_e32 v0, 0x180, v0
	v_add_co_u32_e32 v2, vcc, v8, v2
	v_addc_co_u32_e32 v3, vcc, v7, v3, vcc
	global_store_dword v[2:3], v5, off
	ds_read_b32 v2, v6 offset:1536
	v_lshlrev_b64 v[0:1], 2, v[0:1]
	v_add_co_u32_e32 v0, vcc, v8, v0
	v_addc_co_u32_e32 v1, vcc, v7, v1, vcc
	s_waitcnt lgkmcnt(0)
	global_store_dword v[0:1], v2, off
.LBB0_29:
	s_endpgm
	.section	.rodata,"a",@progbits
	.p2align	6, 0x0
	.amdhsa_kernel fft_rtc_back_len416_factors_13_2_16_wgs_64_tpt_32_half_ip_CI_unitstride_sbrr_C2R_dirReg
		.amdhsa_group_segment_fixed_size 0
		.amdhsa_private_segment_fixed_size 0
		.amdhsa_kernarg_size 88
		.amdhsa_user_sgpr_count 6
		.amdhsa_user_sgpr_private_segment_buffer 1
		.amdhsa_user_sgpr_dispatch_ptr 0
		.amdhsa_user_sgpr_queue_ptr 0
		.amdhsa_user_sgpr_kernarg_segment_ptr 1
		.amdhsa_user_sgpr_dispatch_id 0
		.amdhsa_user_sgpr_flat_scratch_init 0
		.amdhsa_user_sgpr_private_segment_size 0
		.amdhsa_uses_dynamic_stack 0
		.amdhsa_system_sgpr_private_segment_wavefront_offset 0
		.amdhsa_system_sgpr_workgroup_id_x 1
		.amdhsa_system_sgpr_workgroup_id_y 0
		.amdhsa_system_sgpr_workgroup_id_z 0
		.amdhsa_system_sgpr_workgroup_info 0
		.amdhsa_system_vgpr_workitem_id 0
		.amdhsa_next_free_vgpr 62
		.amdhsa_next_free_sgpr 23
		.amdhsa_reserve_vcc 1
		.amdhsa_reserve_flat_scratch 0
		.amdhsa_float_round_mode_32 0
		.amdhsa_float_round_mode_16_64 0
		.amdhsa_float_denorm_mode_32 3
		.amdhsa_float_denorm_mode_16_64 3
		.amdhsa_dx10_clamp 1
		.amdhsa_ieee_mode 1
		.amdhsa_fp16_overflow 0
		.amdhsa_exception_fp_ieee_invalid_op 0
		.amdhsa_exception_fp_denorm_src 0
		.amdhsa_exception_fp_ieee_div_zero 0
		.amdhsa_exception_fp_ieee_overflow 0
		.amdhsa_exception_fp_ieee_underflow 0
		.amdhsa_exception_fp_ieee_inexact 0
		.amdhsa_exception_int_div_zero 0
	.end_amdhsa_kernel
	.text
.Lfunc_end0:
	.size	fft_rtc_back_len416_factors_13_2_16_wgs_64_tpt_32_half_ip_CI_unitstride_sbrr_C2R_dirReg, .Lfunc_end0-fft_rtc_back_len416_factors_13_2_16_wgs_64_tpt_32_half_ip_CI_unitstride_sbrr_C2R_dirReg
                                        ; -- End function
	.section	.AMDGPU.csdata,"",@progbits
; Kernel info:
; codeLenInByte = 9172
; NumSgprs: 27
; NumVgprs: 62
; ScratchSize: 0
; MemoryBound: 0
; FloatMode: 240
; IeeeMode: 1
; LDSByteSize: 0 bytes/workgroup (compile time only)
; SGPRBlocks: 3
; VGPRBlocks: 15
; NumSGPRsForWavesPerEU: 27
; NumVGPRsForWavesPerEU: 62
; Occupancy: 4
; WaveLimiterHint : 1
; COMPUTE_PGM_RSRC2:SCRATCH_EN: 0
; COMPUTE_PGM_RSRC2:USER_SGPR: 6
; COMPUTE_PGM_RSRC2:TRAP_HANDLER: 0
; COMPUTE_PGM_RSRC2:TGID_X_EN: 1
; COMPUTE_PGM_RSRC2:TGID_Y_EN: 0
; COMPUTE_PGM_RSRC2:TGID_Z_EN: 0
; COMPUTE_PGM_RSRC2:TIDIG_COMP_CNT: 0
	.type	__hip_cuid_6ac728b1becc2918,@object ; @__hip_cuid_6ac728b1becc2918
	.section	.bss,"aw",@nobits
	.globl	__hip_cuid_6ac728b1becc2918
__hip_cuid_6ac728b1becc2918:
	.byte	0                               ; 0x0
	.size	__hip_cuid_6ac728b1becc2918, 1

	.ident	"AMD clang version 19.0.0git (https://github.com/RadeonOpenCompute/llvm-project roc-6.4.0 25133 c7fe45cf4b819c5991fe208aaa96edf142730f1d)"
	.section	".note.GNU-stack","",@progbits
	.addrsig
	.addrsig_sym __hip_cuid_6ac728b1becc2918
	.amdgpu_metadata
---
amdhsa.kernels:
  - .args:
      - .actual_access:  read_only
        .address_space:  global
        .offset:         0
        .size:           8
        .value_kind:     global_buffer
      - .offset:         8
        .size:           8
        .value_kind:     by_value
      - .actual_access:  read_only
        .address_space:  global
        .offset:         16
        .size:           8
        .value_kind:     global_buffer
      - .actual_access:  read_only
        .address_space:  global
        .offset:         24
        .size:           8
        .value_kind:     global_buffer
      - .offset:         32
        .size:           8
        .value_kind:     by_value
      - .actual_access:  read_only
        .address_space:  global
        .offset:         40
        .size:           8
        .value_kind:     global_buffer
      - .actual_access:  read_only
        .address_space:  global
        .offset:         48
        .size:           8
        .value_kind:     global_buffer
      - .offset:         56
        .size:           4
        .value_kind:     by_value
      - .actual_access:  read_only
        .address_space:  global
        .offset:         64
        .size:           8
        .value_kind:     global_buffer
      - .actual_access:  read_only
        .address_space:  global
        .offset:         72
        .size:           8
        .value_kind:     global_buffer
      - .address_space:  global
        .offset:         80
        .size:           8
        .value_kind:     global_buffer
    .group_segment_fixed_size: 0
    .kernarg_segment_align: 8
    .kernarg_segment_size: 88
    .language:       OpenCL C
    .language_version:
      - 2
      - 0
    .max_flat_workgroup_size: 64
    .name:           fft_rtc_back_len416_factors_13_2_16_wgs_64_tpt_32_half_ip_CI_unitstride_sbrr_C2R_dirReg
    .private_segment_fixed_size: 0
    .sgpr_count:     27
    .sgpr_spill_count: 0
    .symbol:         fft_rtc_back_len416_factors_13_2_16_wgs_64_tpt_32_half_ip_CI_unitstride_sbrr_C2R_dirReg.kd
    .uniform_work_group_size: 1
    .uses_dynamic_stack: false
    .vgpr_count:     62
    .vgpr_spill_count: 0
    .wavefront_size: 64
amdhsa.target:   amdgcn-amd-amdhsa--gfx906
amdhsa.version:
  - 1
  - 2
...

	.end_amdgpu_metadata
